;; amdgpu-corpus repo=ROCm/rocFFT kind=compiled arch=gfx1201 opt=O3
	.text
	.amdgcn_target "amdgcn-amd-amdhsa--gfx1201"
	.amdhsa_code_object_version 6
	.protected	fft_rtc_back_len1800_factors_10_6_10_3_wgs_180_tpt_180_halfLds_dp_op_CI_CI_unitstride_sbrr_R2C_dirReg ; -- Begin function fft_rtc_back_len1800_factors_10_6_10_3_wgs_180_tpt_180_halfLds_dp_op_CI_CI_unitstride_sbrr_R2C_dirReg
	.globl	fft_rtc_back_len1800_factors_10_6_10_3_wgs_180_tpt_180_halfLds_dp_op_CI_CI_unitstride_sbrr_R2C_dirReg
	.p2align	8
	.type	fft_rtc_back_len1800_factors_10_6_10_3_wgs_180_tpt_180_halfLds_dp_op_CI_CI_unitstride_sbrr_R2C_dirReg,@function
fft_rtc_back_len1800_factors_10_6_10_3_wgs_180_tpt_180_halfLds_dp_op_CI_CI_unitstride_sbrr_R2C_dirReg: ; @fft_rtc_back_len1800_factors_10_6_10_3_wgs_180_tpt_180_halfLds_dp_op_CI_CI_unitstride_sbrr_R2C_dirReg
; %bb.0:
	s_clause 0x2
	s_load_b128 s[8:11], s[0:1], 0x0
	s_load_b128 s[4:7], s[0:1], 0x58
	;; [unrolled: 1-line block ×3, first 2 shown]
	v_mul_u32_u24_e32 v1, 0x16d, v0
	v_mov_b32_e32 v3, 0
	s_delay_alu instid0(VALU_DEP_2) | instskip(NEXT) | instid1(VALU_DEP_1)
	v_lshrrev_b32_e32 v1, 16, v1
	v_add_nc_u32_e32 v5, ttmp9, v1
	v_mov_b32_e32 v1, 0
	v_mov_b32_e32 v2, 0
	;; [unrolled: 1-line block ×3, first 2 shown]
	s_wait_kmcnt 0x0
	v_cmp_lt_u64_e64 s2, s[10:11], 2
	s_delay_alu instid0(VALU_DEP_1)
	s_and_b32 vcc_lo, exec_lo, s2
	s_cbranch_vccnz .LBB0_8
; %bb.1:
	s_load_b64 s[2:3], s[0:1], 0x10
	v_mov_b32_e32 v1, 0
	v_mov_b32_e32 v2, 0
	s_add_nc_u64 s[16:17], s[14:15], 8
	s_add_nc_u64 s[18:19], s[12:13], 8
	s_mov_b64 s[20:21], 1
	s_delay_alu instid0(VALU_DEP_1)
	v_dual_mov_b32 v49, v2 :: v_dual_mov_b32 v48, v1
	s_wait_kmcnt 0x0
	s_add_nc_u64 s[22:23], s[2:3], 8
	s_mov_b32 s3, 0
.LBB0_2:                                ; =>This Inner Loop Header: Depth=1
	s_load_b64 s[24:25], s[22:23], 0x0
                                        ; implicit-def: $vgpr52_vgpr53
	s_mov_b32 s2, exec_lo
	s_wait_kmcnt 0x0
	v_or_b32_e32 v4, s25, v6
	s_delay_alu instid0(VALU_DEP_1)
	v_cmpx_ne_u64_e32 0, v[3:4]
	s_wait_alu 0xfffe
	s_xor_b32 s26, exec_lo, s2
	s_cbranch_execz .LBB0_4
; %bb.3:                                ;   in Loop: Header=BB0_2 Depth=1
	s_cvt_f32_u32 s2, s24
	s_cvt_f32_u32 s27, s25
	s_sub_nc_u64 s[30:31], 0, s[24:25]
	s_wait_alu 0xfffe
	s_delay_alu instid0(SALU_CYCLE_1) | instskip(SKIP_1) | instid1(SALU_CYCLE_2)
	s_fmamk_f32 s2, s27, 0x4f800000, s2
	s_wait_alu 0xfffe
	v_s_rcp_f32 s2, s2
	s_delay_alu instid0(TRANS32_DEP_1) | instskip(SKIP_1) | instid1(SALU_CYCLE_2)
	s_mul_f32 s2, s2, 0x5f7ffffc
	s_wait_alu 0xfffe
	s_mul_f32 s27, s2, 0x2f800000
	s_wait_alu 0xfffe
	s_delay_alu instid0(SALU_CYCLE_2) | instskip(SKIP_1) | instid1(SALU_CYCLE_2)
	s_trunc_f32 s27, s27
	s_wait_alu 0xfffe
	s_fmamk_f32 s2, s27, 0xcf800000, s2
	s_cvt_u32_f32 s29, s27
	s_wait_alu 0xfffe
	s_delay_alu instid0(SALU_CYCLE_1) | instskip(SKIP_1) | instid1(SALU_CYCLE_2)
	s_cvt_u32_f32 s28, s2
	s_wait_alu 0xfffe
	s_mul_u64 s[34:35], s[30:31], s[28:29]
	s_wait_alu 0xfffe
	s_mul_hi_u32 s37, s28, s35
	s_mul_i32 s36, s28, s35
	s_mul_hi_u32 s2, s28, s34
	s_mul_i32 s33, s29, s34
	s_wait_alu 0xfffe
	s_add_nc_u64 s[36:37], s[2:3], s[36:37]
	s_mul_hi_u32 s27, s29, s34
	s_mul_hi_u32 s38, s29, s35
	s_add_co_u32 s2, s36, s33
	s_wait_alu 0xfffe
	s_add_co_ci_u32 s2, s37, s27
	s_mul_i32 s34, s29, s35
	s_add_co_ci_u32 s35, s38, 0
	s_wait_alu 0xfffe
	s_add_nc_u64 s[34:35], s[2:3], s[34:35]
	s_wait_alu 0xfffe
	v_add_co_u32 v4, s2, s28, s34
	s_delay_alu instid0(VALU_DEP_1) | instskip(SKIP_1) | instid1(VALU_DEP_1)
	s_cmp_lg_u32 s2, 0
	s_add_co_ci_u32 s29, s29, s35
	v_readfirstlane_b32 s28, v4
	s_wait_alu 0xfffe
	s_delay_alu instid0(VALU_DEP_1)
	s_mul_u64 s[30:31], s[30:31], s[28:29]
	s_wait_alu 0xfffe
	s_mul_hi_u32 s35, s28, s31
	s_mul_i32 s34, s28, s31
	s_mul_hi_u32 s2, s28, s30
	s_mul_i32 s33, s29, s30
	s_wait_alu 0xfffe
	s_add_nc_u64 s[34:35], s[2:3], s[34:35]
	s_mul_hi_u32 s27, s29, s30
	s_mul_hi_u32 s28, s29, s31
	s_wait_alu 0xfffe
	s_add_co_u32 s2, s34, s33
	s_add_co_ci_u32 s2, s35, s27
	s_mul_i32 s30, s29, s31
	s_add_co_ci_u32 s31, s28, 0
	s_wait_alu 0xfffe
	s_add_nc_u64 s[30:31], s[2:3], s[30:31]
	s_wait_alu 0xfffe
	v_add_co_u32 v4, s2, v4, s30
	s_delay_alu instid0(VALU_DEP_1) | instskip(SKIP_1) | instid1(VALU_DEP_1)
	s_cmp_lg_u32 s2, 0
	s_add_co_ci_u32 s2, s29, s31
	v_mul_hi_u32 v13, v5, v4
	s_wait_alu 0xfffe
	v_mad_co_u64_u32 v[7:8], null, v5, s2, 0
	v_mad_co_u64_u32 v[9:10], null, v6, v4, 0
	;; [unrolled: 1-line block ×3, first 2 shown]
	s_delay_alu instid0(VALU_DEP_3) | instskip(SKIP_1) | instid1(VALU_DEP_4)
	v_add_co_u32 v4, vcc_lo, v13, v7
	s_wait_alu 0xfffd
	v_add_co_ci_u32_e32 v7, vcc_lo, 0, v8, vcc_lo
	s_delay_alu instid0(VALU_DEP_2) | instskip(SKIP_1) | instid1(VALU_DEP_2)
	v_add_co_u32 v4, vcc_lo, v4, v9
	s_wait_alu 0xfffd
	v_add_co_ci_u32_e32 v4, vcc_lo, v7, v10, vcc_lo
	s_wait_alu 0xfffd
	v_add_co_ci_u32_e32 v7, vcc_lo, 0, v12, vcc_lo
	s_delay_alu instid0(VALU_DEP_2) | instskip(SKIP_1) | instid1(VALU_DEP_2)
	v_add_co_u32 v4, vcc_lo, v4, v11
	s_wait_alu 0xfffd
	v_add_co_ci_u32_e32 v9, vcc_lo, 0, v7, vcc_lo
	s_delay_alu instid0(VALU_DEP_2) | instskip(SKIP_1) | instid1(VALU_DEP_3)
	v_mul_lo_u32 v10, s25, v4
	v_mad_co_u64_u32 v[7:8], null, s24, v4, 0
	v_mul_lo_u32 v11, s24, v9
	s_delay_alu instid0(VALU_DEP_2) | instskip(NEXT) | instid1(VALU_DEP_2)
	v_sub_co_u32 v7, vcc_lo, v5, v7
	v_add3_u32 v8, v8, v11, v10
	s_delay_alu instid0(VALU_DEP_1) | instskip(SKIP_1) | instid1(VALU_DEP_1)
	v_sub_nc_u32_e32 v10, v6, v8
	s_wait_alu 0xfffd
	v_subrev_co_ci_u32_e64 v10, s2, s25, v10, vcc_lo
	v_add_co_u32 v11, s2, v4, 2
	s_wait_alu 0xf1ff
	v_add_co_ci_u32_e64 v12, s2, 0, v9, s2
	v_sub_co_u32 v13, s2, v7, s24
	v_sub_co_ci_u32_e32 v8, vcc_lo, v6, v8, vcc_lo
	s_wait_alu 0xf1ff
	v_subrev_co_ci_u32_e64 v10, s2, 0, v10, s2
	s_delay_alu instid0(VALU_DEP_3) | instskip(NEXT) | instid1(VALU_DEP_3)
	v_cmp_le_u32_e32 vcc_lo, s24, v13
	v_cmp_eq_u32_e64 s2, s25, v8
	s_wait_alu 0xfffd
	v_cndmask_b32_e64 v13, 0, -1, vcc_lo
	v_cmp_le_u32_e32 vcc_lo, s25, v10
	s_wait_alu 0xfffd
	v_cndmask_b32_e64 v14, 0, -1, vcc_lo
	v_cmp_le_u32_e32 vcc_lo, s24, v7
	;; [unrolled: 3-line block ×3, first 2 shown]
	s_wait_alu 0xfffd
	v_cndmask_b32_e64 v15, 0, -1, vcc_lo
	v_cmp_eq_u32_e32 vcc_lo, s25, v10
	s_wait_alu 0xf1ff
	s_delay_alu instid0(VALU_DEP_2)
	v_cndmask_b32_e64 v7, v15, v7, s2
	s_wait_alu 0xfffd
	v_cndmask_b32_e32 v10, v14, v13, vcc_lo
	v_add_co_u32 v13, vcc_lo, v4, 1
	s_wait_alu 0xfffd
	v_add_co_ci_u32_e32 v14, vcc_lo, 0, v9, vcc_lo
	s_delay_alu instid0(VALU_DEP_3) | instskip(SKIP_1) | instid1(VALU_DEP_2)
	v_cmp_ne_u32_e32 vcc_lo, 0, v10
	s_wait_alu 0xfffd
	v_cndmask_b32_e32 v8, v14, v12, vcc_lo
	v_cndmask_b32_e32 v10, v13, v11, vcc_lo
	v_cmp_ne_u32_e32 vcc_lo, 0, v7
	s_wait_alu 0xfffd
	s_delay_alu instid0(VALU_DEP_2)
	v_dual_cndmask_b32 v53, v9, v8 :: v_dual_cndmask_b32 v52, v4, v10
.LBB0_4:                                ;   in Loop: Header=BB0_2 Depth=1
	s_wait_alu 0xfffe
	s_and_not1_saveexec_b32 s2, s26
	s_cbranch_execz .LBB0_6
; %bb.5:                                ;   in Loop: Header=BB0_2 Depth=1
	v_cvt_f32_u32_e32 v4, s24
	s_sub_co_i32 s26, 0, s24
	v_mov_b32_e32 v53, v3
	s_delay_alu instid0(VALU_DEP_2) | instskip(NEXT) | instid1(TRANS32_DEP_1)
	v_rcp_iflag_f32_e32 v4, v4
	v_mul_f32_e32 v4, 0x4f7ffffe, v4
	s_delay_alu instid0(VALU_DEP_1) | instskip(SKIP_1) | instid1(VALU_DEP_1)
	v_cvt_u32_f32_e32 v4, v4
	s_wait_alu 0xfffe
	v_mul_lo_u32 v7, s26, v4
	s_delay_alu instid0(VALU_DEP_1) | instskip(NEXT) | instid1(VALU_DEP_1)
	v_mul_hi_u32 v7, v4, v7
	v_add_nc_u32_e32 v4, v4, v7
	s_delay_alu instid0(VALU_DEP_1) | instskip(NEXT) | instid1(VALU_DEP_1)
	v_mul_hi_u32 v4, v5, v4
	v_mul_lo_u32 v7, v4, s24
	v_add_nc_u32_e32 v8, 1, v4
	s_delay_alu instid0(VALU_DEP_2) | instskip(NEXT) | instid1(VALU_DEP_1)
	v_sub_nc_u32_e32 v7, v5, v7
	v_subrev_nc_u32_e32 v9, s24, v7
	v_cmp_le_u32_e32 vcc_lo, s24, v7
	s_wait_alu 0xfffd
	s_delay_alu instid0(VALU_DEP_2) | instskip(NEXT) | instid1(VALU_DEP_1)
	v_dual_cndmask_b32 v7, v7, v9 :: v_dual_cndmask_b32 v4, v4, v8
	v_cmp_le_u32_e32 vcc_lo, s24, v7
	s_delay_alu instid0(VALU_DEP_2) | instskip(SKIP_1) | instid1(VALU_DEP_1)
	v_add_nc_u32_e32 v8, 1, v4
	s_wait_alu 0xfffd
	v_cndmask_b32_e32 v52, v4, v8, vcc_lo
.LBB0_6:                                ;   in Loop: Header=BB0_2 Depth=1
	s_wait_alu 0xfffe
	s_or_b32 exec_lo, exec_lo, s2
	v_mul_lo_u32 v4, v53, s24
	s_delay_alu instid0(VALU_DEP_2)
	v_mul_lo_u32 v9, v52, s25
	s_load_b64 s[26:27], s[18:19], 0x0
	v_mad_co_u64_u32 v[7:8], null, v52, s24, 0
	s_load_b64 s[24:25], s[16:17], 0x0
	s_add_nc_u64 s[20:21], s[20:21], 1
	s_add_nc_u64 s[16:17], s[16:17], 8
	s_wait_alu 0xfffe
	v_cmp_ge_u64_e64 s2, s[20:21], s[10:11]
	s_add_nc_u64 s[18:19], s[18:19], 8
	s_add_nc_u64 s[22:23], s[22:23], 8
	v_add3_u32 v4, v8, v9, v4
	v_sub_co_u32 v5, vcc_lo, v5, v7
	s_wait_alu 0xfffd
	s_delay_alu instid0(VALU_DEP_2) | instskip(SKIP_2) | instid1(VALU_DEP_1)
	v_sub_co_ci_u32_e32 v4, vcc_lo, v6, v4, vcc_lo
	s_and_b32 vcc_lo, exec_lo, s2
	s_wait_kmcnt 0x0
	v_mul_lo_u32 v6, s26, v4
	v_mul_lo_u32 v7, s27, v5
	v_mad_co_u64_u32 v[1:2], null, s26, v5, v[1:2]
	v_mul_lo_u32 v4, s24, v4
	v_mul_lo_u32 v8, s25, v5
	v_mad_co_u64_u32 v[48:49], null, s24, v5, v[48:49]
	s_delay_alu instid0(VALU_DEP_4) | instskip(NEXT) | instid1(VALU_DEP_2)
	v_add3_u32 v2, v7, v2, v6
	v_add3_u32 v49, v8, v49, v4
	s_wait_alu 0xfffe
	s_cbranch_vccnz .LBB0_9
; %bb.7:                                ;   in Loop: Header=BB0_2 Depth=1
	v_dual_mov_b32 v5, v52 :: v_dual_mov_b32 v6, v53
	s_branch .LBB0_2
.LBB0_8:
	v_dual_mov_b32 v49, v2 :: v_dual_mov_b32 v48, v1
	v_dual_mov_b32 v53, v6 :: v_dual_mov_b32 v52, v5
.LBB0_9:
	s_load_b64 s[0:1], s[0:1], 0x28
	v_mul_hi_u32 v3, 0x16c16c2, v0
	s_lshl_b64 s[10:11], s[10:11], 3
                                        ; implicit-def: $vgpr50
                                        ; implicit-def: $vgpr54
	s_wait_kmcnt 0x0
	v_cmp_gt_u64_e32 vcc_lo, s[0:1], v[52:53]
	v_cmp_le_u64_e64 s0, s[0:1], v[52:53]
	s_delay_alu instid0(VALU_DEP_1)
	s_and_saveexec_b32 s1, s0
	s_wait_alu 0xfffe
	s_xor_b32 s0, exec_lo, s1
; %bb.10:
	v_mul_u32_u24_e32 v1, 0xb4, v3
                                        ; implicit-def: $vgpr3
	s_delay_alu instid0(VALU_DEP_1) | instskip(NEXT) | instid1(VALU_DEP_1)
	v_sub_nc_u32_e32 v50, v0, v1
                                        ; implicit-def: $vgpr0
                                        ; implicit-def: $vgpr1_vgpr2
	v_add_nc_u32_e32 v54, 0xb4, v50
; %bb.11:
	s_wait_alu 0xfffe
	s_or_saveexec_b32 s1, s0
	s_add_nc_u64 s[2:3], s[14:15], s[10:11]
	s_wait_alu 0xfffe
	s_xor_b32 exec_lo, exec_lo, s1
	s_cbranch_execz .LBB0_13
; %bb.12:
	s_add_nc_u64 s[10:11], s[12:13], s[10:11]
	v_lshlrev_b64_e32 v[1:2], 4, v[1:2]
	s_load_b64 s[10:11], s[10:11], 0x0
	s_wait_kmcnt 0x0
	v_mul_lo_u32 v6, s11, v52
	v_mul_lo_u32 v7, s10, v53
	v_mad_co_u64_u32 v[4:5], null, s10, v52, 0
	s_delay_alu instid0(VALU_DEP_1) | instskip(SKIP_1) | instid1(VALU_DEP_2)
	v_add3_u32 v5, v5, v7, v6
	v_mul_u32_u24_e32 v6, 0xb4, v3
	v_lshlrev_b64_e32 v[3:4], 4, v[4:5]
	s_delay_alu instid0(VALU_DEP_2) | instskip(NEXT) | instid1(VALU_DEP_1)
	v_sub_nc_u32_e32 v50, v0, v6
	v_lshlrev_b32_e32 v40, 4, v50
	s_delay_alu instid0(VALU_DEP_3) | instskip(SKIP_1) | instid1(VALU_DEP_4)
	v_add_co_u32 v0, s0, s4, v3
	s_wait_alu 0xf1ff
	v_add_co_ci_u32_e64 v3, s0, s5, v4, s0
	v_add_nc_u32_e32 v54, 0xb4, v50
	s_delay_alu instid0(VALU_DEP_3) | instskip(SKIP_1) | instid1(VALU_DEP_3)
	v_add_co_u32 v0, s0, v0, v1
	s_wait_alu 0xf1ff
	v_add_co_ci_u32_e64 v1, s0, v3, v2, s0
	s_delay_alu instid0(VALU_DEP_2) | instskip(SKIP_1) | instid1(VALU_DEP_2)
	v_add_co_u32 v36, s0, v0, v40
	s_wait_alu 0xf1ff
	v_add_co_ci_u32_e64 v37, s0, 0, v1, s0
	s_clause 0x9
	global_load_b128 v[0:3], v[36:37], off
	global_load_b128 v[4:7], v[36:37], off offset:2880
	global_load_b128 v[8:11], v[36:37], off offset:5760
	;; [unrolled: 1-line block ×9, first 2 shown]
	v_add_nc_u32_e32 v40, 0, v40
	s_wait_loadcnt 0x9
	ds_store_b128 v40, v[0:3]
	s_wait_loadcnt 0x8
	ds_store_b128 v40, v[4:7] offset:2880
	s_wait_loadcnt 0x7
	ds_store_b128 v40, v[8:11] offset:5760
	;; [unrolled: 2-line block ×9, first 2 shown]
.LBB0_13:
	s_or_b32 exec_lo, exec_lo, s1
	v_lshl_add_u32 v57, v50, 4, 0
	s_load_b64 s[2:3], s[2:3], 0x0
	global_wb scope:SCOPE_SE
	s_wait_dscnt 0x0
	s_wait_kmcnt 0x0
	s_barrier_signal -1
	s_barrier_wait -1
	global_inv scope:SCOPE_SE
	ds_load_b128 v[0:3], v57 offset:14400
	ds_load_b128 v[4:7], v57 offset:20160
	;; [unrolled: 1-line block ×9, first 2 shown]
	ds_load_b128 v[36:39], v57
	s_mov_b32 s10, 0x134454ff
	s_mov_b32 s11, 0xbfee6f0e
	;; [unrolled: 1-line block ×3, first 2 shown]
	s_wait_alu 0xfffe
	s_mov_b32 s0, s10
	s_mov_b32 s14, 0x4755a5e
	;; [unrolled: 1-line block ×9, first 2 shown]
	s_wait_dscnt 0x8
	v_add_f64_e32 v[40:41], v[2:3], v[6:7]
	v_add_f64_e32 v[44:45], v[0:1], v[4:5]
	s_wait_dscnt 0x6
	v_add_f64_e32 v[42:43], v[14:15], v[10:11]
	v_add_f64_e32 v[46:47], v[12:13], v[8:9]
	v_add_f64_e64 v[55:56], v[12:13], -v[8:9]
	v_add_f64_e64 v[58:59], v[0:1], -v[4:5]
	;; [unrolled: 1-line block ×3, first 2 shown]
	s_wait_dscnt 0x3
	v_add_f64_e32 v[62:63], v[20:21], v[24:25]
	s_wait_dscnt 0x2
	v_add_f64_e32 v[64:65], v[16:17], v[28:29]
	v_add_f64_e32 v[66:67], v[22:23], v[26:27]
	;; [unrolled: 1-line block ×3, first 2 shown]
	v_add_f64_e64 v[70:71], v[12:13], -v[0:1]
	v_add_f64_e64 v[72:73], v[8:9], -v[4:5]
	v_add_f64_e64 v[74:75], v[14:15], -v[2:3]
	v_add_f64_e64 v[76:77], v[10:11], -v[6:7]
	v_add_f64_e64 v[82:83], v[2:3], -v[6:7]
	v_add_f64_e64 v[78:79], v[2:3], -v[14:15]
	v_add_f64_e64 v[80:81], v[6:7], -v[10:11]
	s_wait_dscnt 0x0
	v_add_f64_e32 v[90:91], v[36:37], v[16:17]
	v_add_f64_e32 v[94:95], v[38:39], v[18:19]
	;; [unrolled: 1-line block ×3, first 2 shown]
	v_add_f64_e64 v[92:93], v[18:19], -v[30:31]
	v_add_f64_e64 v[96:97], v[16:17], -v[28:29]
	v_add_f64_e64 v[98:99], v[22:23], -v[26:27]
	v_add_f64_e64 v[100:101], v[20:21], -v[24:25]
	s_mov_b32 s18, s12
	s_mov_b32 s17, 0x3fe9e377
	;; [unrolled: 1-line block ×4, first 2 shown]
	global_wb scope:SCOPE_SE
	s_barrier_signal -1
	s_barrier_wait -1
	global_inv scope:SCOPE_SE
	v_fma_f64 v[40:41], v[40:41], -0.5, v[34:35]
	v_fma_f64 v[44:45], v[44:45], -0.5, v[32:33]
	;; [unrolled: 1-line block ×4, first 2 shown]
	v_add_f64_e32 v[32:33], v[32:33], v[12:13]
	v_add_f64_e64 v[12:13], v[0:1], -v[12:13]
	v_add_f64_e64 v[34:35], v[4:5], -v[8:9]
	v_fma_f64 v[62:63], v[62:63], -0.5, v[36:37]
	v_fma_f64 v[36:37], v[64:65], -0.5, v[36:37]
	;; [unrolled: 1-line block ×4, first 2 shown]
	v_add_f64_e32 v[66:67], v[70:71], v[72:73]
	v_add_f64_e32 v[68:69], v[74:75], v[76:77]
	;; [unrolled: 1-line block ×3, first 2 shown]
	v_add_f64_e64 v[78:79], v[18:19], -v[22:23]
	v_add_f64_e64 v[18:19], v[22:23], -v[18:19]
	v_add_f64_e32 v[22:23], v[94:95], v[22:23]
	v_add_f64_e32 v[2:3], v[14:15], v[2:3]
	v_add_f64_e64 v[80:81], v[28:29], -v[24:25]
	s_wait_alu 0xfffe
	v_fma_f64 v[84:85], v[55:56], s[0:1], v[40:41]
	v_fma_f64 v[88:89], v[60:61], s[10:11], v[44:45]
	;; [unrolled: 1-line block ×8, first 2 shown]
	v_add_f64_e32 v[0:1], v[32:33], v[0:1]
	v_add_f64_e32 v[12:13], v[12:13], v[34:35]
	v_fma_f64 v[14:15], v[92:93], s[10:11], v[62:63]
	v_fma_f64 v[32:33], v[92:93], s[0:1], v[62:63]
	;; [unrolled: 1-line block ×6, first 2 shown]
	v_add_f64_e32 v[22:23], v[22:23], v[26:27]
	v_add_f64_e32 v[2:3], v[2:3], v[6:7]
	v_fma_f64 v[74:75], v[58:59], s[4:5], v[84:85]
	v_add_f64_e64 v[84:85], v[24:25], -v[28:29]
	v_fma_f64 v[76:77], v[55:56], s[4:5], v[86:87]
	v_fma_f64 v[42:43], v[55:56], s[14:15], v[42:43]
	;; [unrolled: 1-line block ×4, first 2 shown]
	v_add_f64_e64 v[58:59], v[16:17], -v[20:21]
	v_add_f64_e64 v[16:17], v[20:21], -v[16:17]
	v_add_f64_e32 v[20:21], v[90:91], v[20:21]
	v_add_f64_e64 v[86:87], v[30:31], -v[26:27]
	v_fma_f64 v[90:91], v[100:101], s[10:11], v[38:39]
	v_fma_f64 v[38:39], v[100:101], s[0:1], v[38:39]
	;; [unrolled: 1-line block ×5, first 2 shown]
	v_add_f64_e64 v[88:89], v[26:27], -v[30:31]
	v_add_f64_e32 v[0:1], v[0:1], v[4:5]
	v_fma_f64 v[4:5], v[98:99], s[14:15], v[14:15]
	v_fma_f64 v[26:27], v[100:101], s[4:5], v[62:63]
	v_fma_f64 v[6:7], v[98:99], s[4:5], v[32:33]
	v_fma_f64 v[14:15], v[92:93], s[14:15], v[34:35]
	v_fma_f64 v[32:33], v[100:101], s[14:15], v[64:65]
	v_add_f64_e32 v[22:23], v[22:23], v[30:31]
	v_add_f64_e32 v[2:3], v[2:3], v[10:11]
	v_fma_f64 v[60:61], v[68:69], s[12:13], v[74:75]
	v_fma_f64 v[74:75], v[70:71], s[12:13], v[76:77]
	;; [unrolled: 1-line block ×5, first 2 shown]
	v_add_f64_e32 v[58:59], v[58:59], v[80:81]
	v_add_f64_e32 v[16:17], v[16:17], v[84:85]
	;; [unrolled: 1-line block ×4, first 2 shown]
	v_fma_f64 v[24:25], v[92:93], s[4:5], v[36:37]
	v_fma_f64 v[36:37], v[96:97], s[14:15], v[38:39]
	;; [unrolled: 1-line block ×5, first 2 shown]
	v_add_f64_e32 v[18:19], v[18:19], v[88:89]
	v_fma_f64 v[34:35], v[96:97], s[4:5], v[90:91]
	v_add_f64_e32 v[0:1], v[0:1], v[8:9]
	v_mul_f64_e32 v[46:47], s[14:15], v[60:61]
	v_mul_f64_e32 v[62:63], s[10:11], v[74:75]
	;; [unrolled: 1-line block ×8, first 2 shown]
	v_add_f64_e32 v[20:21], v[20:21], v[28:29]
	v_fma_f64 v[4:5], v[58:59], s[12:13], v[4:5]
	v_fma_f64 v[30:31], v[68:69], s[12:13], v[26:27]
	v_fma_f64 v[6:7], v[58:59], s[12:13], v[6:7]
	v_fma_f64 v[10:11], v[16:17], s[12:13], v[14:15]
	v_fma_f64 v[58:59], v[68:69], s[12:13], v[32:33]
	v_fma_f64 v[28:29], v[16:17], s[12:13], v[24:25]
	v_fma_f64 v[68:69], v[18:19], s[12:13], v[34:35]
	v_fma_f64 v[74:75], v[18:19], s[12:13], v[36:37]
	v_add_f64_e32 v[14:15], v[22:23], v[2:3]
	v_add_f64_e64 v[18:19], v[22:23], -v[2:3]
	v_fma_f64 v[8:9], v[55:56], s[16:17], v[46:47]
	v_fma_f64 v[46:47], v[44:45], s[12:13], v[62:63]
	;; [unrolled: 1-line block ×8, first 2 shown]
	v_add_f64_e32 v[12:13], v[20:21], v[0:1]
	v_add_f64_e64 v[16:17], v[20:21], -v[0:1]
	v_cmp_gt_u32_e64 s0, 0x78, v50
	v_add_f64_e32 v[20:21], v[4:5], v[8:9]
	v_add_f64_e64 v[8:9], v[4:5], -v[8:9]
	v_add_f64_e32 v[24:25], v[10:11], v[46:47]
	v_add_f64_e32 v[26:27], v[68:69], v[44:45]
	;; [unrolled: 1-line block ×7, first 2 shown]
	v_add_f64_e64 v[0:1], v[10:11], -v[46:47]
	v_add_f64_e64 v[10:11], v[30:31], -v[60:61]
	v_add_f64_e64 v[2:3], v[68:69], -v[44:45]
	v_add_f64_e64 v[4:5], v[28:29], -v[55:56]
	v_add_f64_e64 v[28:29], v[6:7], -v[62:63]
	v_add_f64_e64 v[6:7], v[74:75], -v[42:43]
	v_add_f64_e64 v[30:31], v[58:59], -v[40:41]
	v_mad_u32_u24 v40, 0x90, v50, v57
	v_lshl_add_u32 v58, v54, 4, 0
                                        ; implicit-def: $vgpr46_vgpr47
	ds_store_b128 v40, v[12:15]
	ds_store_b128 v40, v[20:23] offset:16
	ds_store_b128 v40, v[24:27] offset:32
	;; [unrolled: 1-line block ×9, first 2 shown]
	global_wb scope:SCOPE_SE
	s_wait_dscnt 0x0
	s_barrier_signal -1
	s_barrier_wait -1
	global_inv scope:SCOPE_SE
	ds_load_b128 v[12:15], v57
	ds_load_b128 v[16:19], v57 offset:4800
	ds_load_b128 v[20:23], v57 offset:9600
	ds_load_b128 v[40:43], v57 offset:14400
	ds_load_b128 v[24:27], v57 offset:19200
	ds_load_b128 v[36:39], v57 offset:24000
                                        ; implicit-def: $vgpr34_vgpr35
	s_and_saveexec_b32 s1, s0
	s_cbranch_execz .LBB0_15
; %bb.14:
	ds_load_b128 v[0:3], v57 offset:7680
	ds_load_b128 v[4:7], v57 offset:12480
	;; [unrolled: 1-line block ×4, first 2 shown]
	ds_load_b128 v[8:11], v58
	ds_load_b128 v[44:47], v57 offset:26880
.LBB0_15:
	s_wait_alu 0xfffe
	s_or_b32 exec_lo, exec_lo, s1
	v_and_b32_e32 v51, 0xff, v50
	v_and_b32_e32 v56, 0xffff, v54
	s_mov_b32 s4, 0xe8584caa
	s_mov_b32 s5, 0xbfebb67a
	;; [unrolled: 1-line block ×3, first 2 shown]
	v_mul_lo_u16 v55, 0xcd, v51
	s_wait_alu 0xfffe
	s_mov_b32 s10, s4
	s_delay_alu instid0(VALU_DEP_1) | instskip(SKIP_1) | instid1(VALU_DEP_2)
	v_lshrrev_b16 v109, 11, v55
	v_mul_u32_u24_e32 v55, 0xcccd, v56
	v_mul_lo_u16 v56, v109, 10
	s_delay_alu instid0(VALU_DEP_2) | instskip(NEXT) | instid1(VALU_DEP_2)
	v_lshrrev_b32_e32 v55, 19, v55
	v_sub_nc_u16 v56, v50, v56
	s_delay_alu instid0(VALU_DEP_2) | instskip(NEXT) | instid1(VALU_DEP_2)
	v_mul_lo_u16 v59, v55, 10
	v_and_b32_e32 v110, 0xff, v56
	s_delay_alu instid0(VALU_DEP_2) | instskip(NEXT) | instid1(VALU_DEP_2)
	v_sub_nc_u16 v56, v54, v59
	v_mul_u32_u24_e32 v59, 5, v110
	s_delay_alu instid0(VALU_DEP_2) | instskip(NEXT) | instid1(VALU_DEP_2)
	v_and_b32_e32 v56, 0xffff, v56
	v_lshlrev_b32_e32 v87, 4, v59
	s_delay_alu instid0(VALU_DEP_2)
	v_mul_u32_u24_e32 v67, 5, v56
	s_clause 0x1
	global_load_b128 v[59:62], v87, s[8:9] offset:32
	global_load_b128 v[63:66], v87, s[8:9] offset:64
	v_lshlrev_b32_e32 v95, 4, v67
	s_clause 0x7
	global_load_b128 v[67:70], v95, s[8:9] offset:32
	global_load_b128 v[71:74], v95, s[8:9] offset:64
	global_load_b128 v[75:78], v87, s[8:9]
	global_load_b128 v[79:82], v95, s[8:9]
	global_load_b128 v[83:86], v87, s[8:9] offset:16
	global_load_b128 v[87:90], v87, s[8:9] offset:48
	;; [unrolled: 1-line block ×4, first 2 shown]
	global_wb scope:SCOPE_SE
	s_wait_loadcnt_dscnt 0x0
	s_barrier_signal -1
	s_barrier_wait -1
	global_inv scope:SCOPE_SE
	v_mul_f64_e32 v[103:104], v[28:29], v[69:70]
	v_mul_f64_e32 v[99:100], v[40:41], v[61:62]
	v_mul_f64_e32 v[101:102], v[36:37], v[65:66]
	v_mul_f64_e32 v[61:62], v[42:43], v[61:62]
	v_mul_f64_e32 v[105:106], v[44:45], v[73:74]
	v_mul_f64_e32 v[65:66], v[38:39], v[65:66]
	v_mul_f64_e32 v[107:108], v[16:17], v[77:78]
	v_mul_f64_e32 v[69:70], v[30:31], v[69:70]
	v_mul_f64_e32 v[77:78], v[18:19], v[77:78]
	v_fma_f64 v[42:43], v[42:43], v[59:60], -v[99:100]
	v_fma_f64 v[99:100], v[38:39], v[63:64], -v[101:102]
	v_mul_f64_e32 v[101:102], v[0:1], v[81:82]
	v_fma_f64 v[40:41], v[40:41], v[59:60], v[61:62]
	v_mul_f64_e32 v[59:60], v[46:47], v[73:74]
	v_fma_f64 v[38:39], v[30:31], v[67:68], -v[103:104]
	v_fma_f64 v[30:31], v[46:47], v[71:72], -v[105:106]
	v_mul_f64_e32 v[46:47], v[22:23], v[85:86]
	v_mul_f64_e32 v[61:62], v[20:21], v[85:86]
	;; [unrolled: 1-line block ×3, first 2 shown]
	v_fma_f64 v[63:64], v[36:37], v[63:64], v[65:66]
	v_mul_f64_e32 v[65:66], v[24:25], v[89:90]
	v_mul_f64_e32 v[85:86], v[6:7], v[93:94]
	v_fma_f64 v[89:90], v[18:19], v[75:76], -v[107:108]
	v_fma_f64 v[18:19], v[28:29], v[67:68], v[69:70]
	v_mul_f64_e32 v[67:68], v[4:5], v[93:94]
	v_mul_f64_e32 v[69:70], v[34:35], v[97:98]
	;; [unrolled: 1-line block ×4, first 2 shown]
	v_add_f64_e32 v[103:104], v[42:43], v[99:100]
	v_fma_f64 v[36:37], v[2:3], v[79:80], -v[101:102]
	v_fma_f64 v[28:29], v[44:45], v[71:72], v[59:60]
	v_add_f64_e32 v[2:3], v[38:39], v[30:31]
	v_fma_f64 v[44:45], v[20:21], v[83:84], v[46:47]
	v_fma_f64 v[46:47], v[22:23], v[83:84], -v[61:62]
	v_fma_f64 v[59:60], v[24:25], v[87:88], v[73:74]
	v_add_f64_e32 v[71:72], v[40:41], v[63:64]
	v_fma_f64 v[61:62], v[26:27], v[87:88], -v[65:66]
	v_fma_f64 v[65:66], v[16:17], v[75:76], v[77:78]
	v_add_f64_e64 v[73:74], v[40:41], -v[63:64]
	v_fma_f64 v[20:21], v[4:5], v[91:92], v[85:86]
	v_fma_f64 v[26:27], v[6:7], v[91:92], -v[67:68]
	v_fma_f64 v[16:17], v[32:33], v[95:96], v[69:70]
	v_fma_f64 v[22:23], v[34:35], v[95:96], -v[93:94]
	v_fma_f64 v[24:25], v[0:1], v[79:80], v[81:82]
	v_add_f64_e64 v[34:35], v[42:43], -v[99:100]
	v_add_f64_e64 v[77:78], v[38:39], -v[30:31]
	v_add_f64_e32 v[42:43], v[89:90], v[42:43]
	v_fma_f64 v[75:76], v[103:104], -0.5, v[89:90]
	v_add_f64_e32 v[0:1], v[18:19], v[28:29]
	v_add_f64_e64 v[4:5], v[18:19], -v[28:29]
	v_fma_f64 v[2:3], v[2:3], -0.5, v[36:37]
	v_add_f64_e32 v[6:7], v[44:45], v[59:60]
	v_add_f64_e32 v[32:33], v[46:47], v[61:62]
	v_fma_f64 v[67:68], v[71:72], -0.5, v[65:66]
	v_add_f64_e64 v[81:82], v[46:47], -v[61:62]
	v_add_f64_e32 v[46:47], v[14:15], v[46:47]
	v_add_f64_e32 v[40:41], v[65:66], v[40:41]
	v_add_f64_e64 v[83:84], v[20:21], -v[16:17]
	v_add_f64_e64 v[65:66], v[26:27], -v[22:23]
	v_add_f64_e32 v[91:92], v[42:43], v[99:100]
	s_wait_alu 0xfffe
	v_fma_f64 v[69:70], v[73:74], s[10:11], v[75:76]
	v_fma_f64 v[71:72], v[73:74], s[4:5], v[75:76]
	v_add_f64_e32 v[73:74], v[20:21], v[16:17]
	v_add_f64_e32 v[75:76], v[26:27], v[22:23]
	v_fma_f64 v[0:1], v[0:1], -0.5, v[24:25]
	v_fma_f64 v[79:80], v[4:5], s[10:11], v[2:3]
	v_fma_f64 v[2:3], v[4:5], s[4:5], v[2:3]
	v_add_f64_e32 v[4:5], v[12:13], v[44:45]
	v_add_f64_e64 v[44:45], v[44:45], -v[59:60]
	v_fma_f64 v[6:7], v[6:7], -0.5, v[12:13]
	v_fma_f64 v[12:13], v[32:33], -0.5, v[14:15]
	v_fma_f64 v[14:15], v[34:35], s[4:5], v[67:68]
	v_fma_f64 v[32:33], v[34:35], s[10:11], v[67:68]
	v_add_f64_e32 v[89:90], v[46:47], v[61:62]
	v_add_f64_e32 v[63:64], v[40:41], v[63:64]
	v_mul_f64_e32 v[34:35], s[4:5], v[69:70]
	v_mul_f64_e32 v[67:68], s[4:5], v[71:72]
	v_mul_f64_e32 v[69:70], 0.5, v[69:70]
	v_mul_f64_e32 v[71:72], -0.5, v[71:72]
	v_fma_f64 v[73:74], v[73:74], -0.5, v[8:9]
	v_fma_f64 v[75:76], v[75:76], -0.5, v[10:11]
	v_fma_f64 v[85:86], v[77:78], s[4:5], v[0:1]
	v_fma_f64 v[0:1], v[77:78], s[10:11], v[0:1]
	v_mul_f64_e32 v[77:78], s[4:5], v[79:80]
	v_mul_f64_e32 v[87:88], s[4:5], v[2:3]
	v_mul_f64_e32 v[79:80], 0.5, v[79:80]
	v_mul_f64_e32 v[2:3], -0.5, v[2:3]
	v_add_f64_e32 v[4:5], v[4:5], v[59:60]
	v_fma_f64 v[93:94], v[81:82], s[4:5], v[6:7]
	v_fma_f64 v[6:7], v[81:82], s[10:11], v[6:7]
	v_fma_f64 v[81:82], v[44:45], s[10:11], v[12:13]
	v_fma_f64 v[95:96], v[44:45], s[4:5], v[12:13]
	v_add_f64_e32 v[61:62], v[89:90], v[91:92]
	v_fma_f64 v[97:98], v[14:15], 0.5, v[34:35]
	v_fma_f64 v[99:100], v[32:33], -0.5, v[67:68]
	v_fma_f64 v[101:102], v[14:15], s[10:11], v[69:70]
	v_fma_f64 v[103:104], v[32:33], s[10:11], v[71:72]
	;; [unrolled: 1-line block ×6, first 2 shown]
	v_fma_f64 v[14:15], v[85:86], 0.5, v[77:78]
	v_fma_f64 v[34:35], v[0:1], -0.5, v[87:88]
	v_fma_f64 v[44:45], v[85:86], s[10:11], v[79:80]
	v_fma_f64 v[46:47], v[0:1], s[10:11], v[2:3]
	v_add_f64_e32 v[59:60], v[4:5], v[63:64]
	v_add_f64_e64 v[63:64], v[4:5], -v[63:64]
	v_add_f64_e64 v[65:66], v[89:90], -v[91:92]
	v_and_b32_e32 v83, 0xffff, v109
	v_lshlrev_b32_e32 v84, 4, v110
	s_delay_alu instid0(VALU_DEP_2) | instskip(NEXT) | instid1(VALU_DEP_1)
	v_mul_u32_u24_e32 v83, 0x3c0, v83
	v_add3_u32 v83, 0, v83, v84
	v_add_f64_e32 v[67:68], v[93:94], v[97:98]
	v_add_f64_e32 v[71:72], v[6:7], v[99:100]
	v_add_f64_e64 v[79:80], v[6:7], -v[99:100]
	v_add_f64_e32 v[69:70], v[81:82], v[101:102]
	v_add_f64_e32 v[73:74], v[95:96], v[103:104]
	v_add_f64_e64 v[75:76], v[93:94], -v[97:98]
	v_add_f64_e64 v[77:78], v[81:82], -v[101:102]
	;; [unrolled: 1-line block ×7, first 2 shown]
	ds_store_b128 v83, v[59:62]
	ds_store_b128 v83, v[67:70] offset:160
	ds_store_b128 v83, v[71:74] offset:320
	;; [unrolled: 1-line block ×5, first 2 shown]
	s_and_saveexec_b32 s1, s0
	s_cbranch_execz .LBB0_17
; %bb.16:
	v_add_f64_e32 v[10:11], v[10:11], v[26:27]
	v_add_f64_e32 v[26:27], v[36:37], v[38:39]
	;; [unrolled: 1-line block ×5, first 2 shown]
	v_mul_lo_u16 v12, v55, 60
	v_lshlrev_b32_e32 v13, 4, v56
	s_delay_alu instid0(VALU_DEP_2) | instskip(NEXT) | instid1(VALU_DEP_1)
	v_and_b32_e32 v12, 0xffff, v12
	v_lshlrev_b32_e32 v12, 4, v12
	s_delay_alu instid0(VALU_DEP_1)
	v_add3_u32 v12, 0, v13, v12
	v_add_f64_e32 v[22:23], v[10:11], v[22:23]
	v_add_f64_e32 v[24:25], v[26:27], v[30:31]
	;; [unrolled: 1-line block ×8, first 2 shown]
	v_add_f64_e64 v[24:25], v[22:23], -v[24:25]
	v_add_f64_e32 v[18:19], v[26:27], v[28:29]
	v_add_f64_e64 v[22:23], v[26:27], -v[28:29]
	ds_store_b128 v12, v[18:21]
	ds_store_b128 v12, v[14:17] offset:160
	ds_store_b128 v12, v[8:11] offset:320
	;; [unrolled: 1-line block ×5, first 2 shown]
.LBB0_17:
	s_wait_alu 0xfffe
	s_or_b32 exec_lo, exec_lo, s1
	v_mul_lo_u16 v8, 0x89, v51
	global_wb scope:SCOPE_SE
	s_wait_dscnt 0x0
	s_barrier_signal -1
	s_barrier_wait -1
	global_inv scope:SCOPE_SE
	v_lshrrev_b16 v12, 13, v8
	s_mov_b32 s4, 0x134454ff
	s_mov_b32 s5, 0xbfee6f0e
	;; [unrolled: 1-line block ×3, first 2 shown]
	s_wait_alu 0xfffe
	s_mov_b32 s0, s4
	v_mul_lo_u16 v8, v12, 60
	s_mov_b32 s12, 0x4755a5e
	s_mov_b32 s13, 0xbfe2cf23
	;; [unrolled: 1-line block ×3, first 2 shown]
	s_wait_alu 0xfffe
	s_mov_b32 s10, s12
	v_sub_nc_u16 v8, v50, v8
	s_mov_b32 s14, 0x372fe950
	s_mov_b32 s15, 0x3fd3c6ef
	s_wait_alu 0xfffe
	s_mov_b32 s18, s14
	s_mov_b32 s20, s16
	v_and_b32_e32 v13, 0xff, v8
	v_and_b32_e32 v12, 0xffff, v12
	s_delay_alu instid0(VALU_DEP_2) | instskip(NEXT) | instid1(VALU_DEP_2)
	v_mul_u32_u24_e32 v8, 9, v13
	v_mul_u32_u24_e32 v12, 0x2580, v12
	v_lshlrev_b32_e32 v13, 4, v13
	s_delay_alu instid0(VALU_DEP_3)
	v_lshlrev_b32_e32 v42, 4, v8
	s_clause 0x8
	global_load_b128 v[8:11], v42, s[8:9] offset:832
	global_load_b128 v[14:17], v42, s[8:9] offset:928
	;; [unrolled: 1-line block ×9, first 2 shown]
	ds_load_b128 v[59:62], v57 offset:8640
	ds_load_b128 v[63:66], v57 offset:25920
	ds_load_b128 v[67:70], v57 offset:14400
	ds_load_b128 v[71:74], v57 offset:20160
	ds_load_b128 v[75:78], v58
	v_add3_u32 v12, 0, v12, v13
	s_wait_loadcnt_dscnt 0x804
	v_mul_f64_e32 v[46:47], v[59:60], v[10:11]
	s_wait_loadcnt_dscnt 0x703
	v_mul_f64_e32 v[55:56], v[63:64], v[16:17]
	;; [unrolled: 2-line block ×4, first 2 shown]
	v_mul_f64_e32 v[10:11], v[61:62], v[10:11]
	v_mul_f64_e32 v[20:21], v[69:70], v[20:21]
	;; [unrolled: 1-line block ×4, first 2 shown]
	s_wait_loadcnt_dscnt 0x400
	v_mul_f64_e32 v[99:100], v[75:76], v[28:29]
	v_fma_f64 v[46:47], v[61:62], v[8:9], -v[46:47]
	v_fma_f64 v[55:56], v[65:66], v[14:15], -v[55:56]
	v_fma_f64 v[61:62], v[69:70], v[18:19], -v[79:80]
	v_fma_f64 v[65:66], v[73:74], v[22:23], -v[81:82]
	ds_load_b128 v[79:82], v57 offset:5760
	ds_load_b128 v[83:86], v57 offset:11520
	;; [unrolled: 1-line block ×4, first 2 shown]
	ds_load_b128 v[95:98], v57
	v_fma_f64 v[8:9], v[59:60], v[8:9], v[10:11]
	v_mul_f64_e32 v[10:11], v[77:78], v[28:29]
	v_fma_f64 v[18:19], v[67:68], v[18:19], v[20:21]
	v_fma_f64 v[20:21], v[71:72], v[22:23], v[24:25]
	v_fma_f64 v[14:15], v[63:64], v[14:15], v[16:17]
	v_fma_f64 v[16:17], v[77:78], v[26:27], -v[99:100]
	global_wb scope:SCOPE_SE
	s_wait_loadcnt_dscnt 0x0
	s_barrier_signal -1
	s_barrier_wait -1
	global_inv scope:SCOPE_SE
	v_mul_f64_e32 v[69:70], v[81:82], v[32:33]
	v_mul_f64_e32 v[32:33], v[79:80], v[32:33]
	;; [unrolled: 1-line block ×8, first 2 shown]
	v_add_f64_e32 v[24:25], v[46:47], v[55:56]
	v_add_f64_e32 v[22:23], v[61:62], v[65:66]
	v_add_f64_e64 v[77:78], v[55:56], -v[65:66]
	v_fma_f64 v[10:11], v[75:76], v[26:27], v[10:11]
	v_add_f64_e64 v[75:76], v[46:47], -v[61:62]
	v_add_f64_e32 v[26:27], v[18:19], v[20:21]
	v_add_f64_e64 v[63:64], v[8:9], -v[14:15]
	v_add_f64_e64 v[99:100], v[20:21], -v[14:15]
	v_fma_f64 v[28:29], v[79:80], v[30:31], v[69:70]
	v_fma_f64 v[30:31], v[81:82], v[30:31], -v[32:33]
	v_fma_f64 v[32:33], v[83:84], v[34:35], v[73:74]
	v_fma_f64 v[34:35], v[85:86], v[34:35], -v[36:37]
	v_fma_f64 v[36:37], v[87:88], v[38:39], v[101:102]
	v_fma_f64 v[59:60], v[91:92], v[42:43], v[103:104]
	v_fma_f64 v[38:39], v[89:90], v[38:39], -v[40:41]
	v_fma_f64 v[40:41], v[93:94], v[42:43], -v[44:45]
	v_add_f64_e32 v[42:43], v[8:9], v[14:15]
	v_add_f64_e64 v[44:45], v[18:19], -v[20:21]
	v_add_f64_e64 v[79:80], v[61:62], -v[46:47]
	;; [unrolled: 1-line block ×7, first 2 shown]
	v_fma_f64 v[24:25], v[24:25], -0.5, v[16:17]
	v_fma_f64 v[22:23], v[22:23], -0.5, v[16:17]
	v_add_f64_e32 v[16:17], v[16:17], v[46:47]
	v_add_f64_e32 v[75:76], v[75:76], v[77:78]
	v_fma_f64 v[26:27], v[26:27], -0.5, v[10:11]
	v_add_f64_e32 v[101:102], v[95:96], v[28:29]
	v_add_f64_e32 v[103:104], v[97:98], v[30:31]
	v_add_f64_e64 v[109:110], v[30:31], -v[34:35]
	v_add_f64_e32 v[67:68], v[32:33], v[36:37]
	v_add_f64_e32 v[69:70], v[28:29], v[59:60]
	;; [unrolled: 1-line block ×4, first 2 shown]
	v_fma_f64 v[42:43], v[42:43], -0.5, v[10:11]
	v_add_f64_e32 v[10:11], v[10:11], v[8:9]
	v_add_f64_e64 v[8:9], v[18:19], -v[8:9]
	v_add_f64_e64 v[46:47], v[30:31], -v[40:41]
	;; [unrolled: 1-line block ×4, first 2 shown]
	v_add_f64_e32 v[77:78], v[79:80], v[81:82]
	v_add_f64_e64 v[30:31], v[34:35], -v[30:31]
	v_add_f64_e64 v[111:112], v[40:41], -v[38:39]
	;; [unrolled: 1-line block ×3, first 2 shown]
	v_fma_f64 v[89:90], v[44:45], s[4:5], v[24:25]
	v_fma_f64 v[24:25], v[44:45], s[0:1], v[24:25]
	;; [unrolled: 1-line block ×4, first 2 shown]
	v_add_f64_e32 v[16:17], v[16:17], v[61:62]
	v_fma_f64 v[79:80], v[83:84], s[4:5], v[26:27]
	v_fma_f64 v[26:27], v[83:84], s[0:1], v[26:27]
	v_add_f64_e32 v[34:35], v[103:104], v[34:35]
	v_fma_f64 v[67:68], v[67:68], -0.5, v[95:96]
	v_fma_f64 v[69:70], v[69:70], -0.5, v[95:96]
	;; [unrolled: 1-line block ×3, first 2 shown]
	v_add_f64_e64 v[95:96], v[32:33], -v[36:37]
	v_fma_f64 v[81:82], v[85:86], s[0:1], v[42:43]
	v_fma_f64 v[42:43], v[85:86], s[4:5], v[42:43]
	v_fma_f64 v[73:74], v[73:74], -0.5, v[97:98]
	v_add_f64_e32 v[10:11], v[10:11], v[18:19]
	v_add_f64_e64 v[97:98], v[36:37], -v[59:60]
	v_add_f64_e32 v[18:19], v[91:92], v[93:94]
	v_add_f64_e32 v[8:9], v[8:9], v[99:100]
	;; [unrolled: 1-line block ×3, first 2 shown]
	v_fma_f64 v[89:90], v[63:64], s[10:11], v[89:90]
	v_fma_f64 v[24:25], v[63:64], s[12:13], v[24:25]
	;; [unrolled: 1-line block ×4, first 2 shown]
	v_add_f64_e64 v[44:45], v[28:29], -v[32:33]
	v_add_f64_e64 v[28:29], v[32:33], -v[28:29]
	v_add_f64_e32 v[32:33], v[101:102], v[32:33]
	v_add_f64_e64 v[63:64], v[59:60], -v[36:37]
	v_fma_f64 v[79:80], v[85:86], s[12:13], v[79:80]
	v_fma_f64 v[26:27], v[85:86], s[10:11], v[26:27]
	v_add_f64_e32 v[16:17], v[16:17], v[65:66]
	v_add_f64_e32 v[34:35], v[34:35], v[38:39]
	v_fma_f64 v[61:62], v[46:47], s[4:5], v[67:68]
	v_fma_f64 v[91:92], v[105:106], s[0:1], v[69:70]
	;; [unrolled: 1-line block ×10, first 2 shown]
	v_add_f64_e32 v[10:11], v[10:11], v[20:21]
	v_fma_f64 v[85:86], v[77:78], s[14:15], v[89:90]
	v_fma_f64 v[24:25], v[77:78], s[14:15], v[24:25]
	;; [unrolled: 1-line block ×4, first 2 shown]
	v_add_f64_e32 v[28:29], v[28:29], v[97:98]
	v_add_f64_e32 v[32:33], v[32:33], v[36:37]
	;; [unrolled: 1-line block ×6, first 2 shown]
	v_fma_f64 v[20:21], v[105:106], s[12:13], v[61:62]
	v_fma_f64 v[38:39], v[46:47], s[12:13], v[91:92]
	;; [unrolled: 1-line block ×12, first 2 shown]
	v_add_f64_e32 v[10:11], v[10:11], v[14:15]
	v_mul_f64_e32 v[73:74], s[4:5], v[85:86]
	v_mul_f64_e32 v[75:76], s[4:5], v[24:25]
	;; [unrolled: 1-line block ×6, first 2 shown]
	s_wait_alu 0xfffe
	v_mul_f64_e32 v[24:25], s[18:19], v[24:25]
	v_mul_f64_e32 v[22:23], s[20:21], v[22:23]
	v_add_f64_e32 v[32:33], v[32:33], v[59:60]
	v_add_f64_e32 v[16:17], v[34:35], v[40:41]
	v_fma_f64 v[55:56], v[44:45], s[14:15], v[20:21]
	v_fma_f64 v[59:60], v[28:29], s[14:15], v[38:39]
	;; [unrolled: 1-line block ×4, first 2 shown]
	v_add_f64_e64 v[20:21], v[34:35], -v[40:41]
	v_fma_f64 v[44:45], v[44:45], s[14:15], v[36:37]
	v_fma_f64 v[46:47], v[28:29], s[14:15], v[46:47]
	;; [unrolled: 1-line block ×12, first 2 shown]
	v_add_f64_e32 v[14:15], v[32:33], v[10:11]
	v_add_f64_e64 v[18:19], v[32:33], -v[10:11]
	v_cmp_gt_u32_e64 s0, 60, v50
	v_add_f64_e32 v[30:31], v[46:47], v[69:70]
	v_add_f64_e32 v[22:23], v[55:56], v[38:39]
	;; [unrolled: 1-line block ×8, first 2 shown]
	v_add_f64_e64 v[38:39], v[55:56], -v[38:39]
	v_add_f64_e64 v[40:41], v[61:62], -v[71:72]
	;; [unrolled: 1-line block ×8, first 2 shown]
	ds_store_b128 v12, v[14:17]
	ds_store_b128 v12, v[22:25] offset:960
	ds_store_b128 v12, v[26:29] offset:1920
	;; [unrolled: 1-line block ×9, first 2 shown]
	global_wb scope:SCOPE_SE
	s_wait_dscnt 0x0
	s_barrier_signal -1
	s_barrier_wait -1
	global_inv scope:SCOPE_SE
	ds_load_b128 v[12:15], v58
	ds_load_b128 v[36:39], v57 offset:9600
	ds_load_b128 v[24:27], v57 offset:12480
	ds_load_b128 v[20:23], v57
	ds_load_b128 v[16:19], v57 offset:5760
	ds_load_b128 v[44:47], v57 offset:19200
	;; [unrolled: 1-line block ×5, first 2 shown]
	s_and_saveexec_b32 s1, s0
	s_cbranch_execz .LBB0_19
; %bb.18:
	ds_load_b128 v[8:11], v57 offset:8640
	ds_load_b128 v[0:3], v57 offset:18240
	;; [unrolled: 1-line block ×3, first 2 shown]
.LBB0_19:
	s_wait_alu 0xfffe
	s_or_b32 exec_lo, exec_lo, s1
	v_dual_mov_b32 v56, 0 :: v_dual_lshlrev_b32 v55, 1, v50
	v_lshlrev_b32_e32 v61, 1, v54
	s_mov_b32 s4, 0xe8584caa
	s_mov_b32 s5, 0xbfebb67a
	;; [unrolled: 1-line block ×3, first 2 shown]
	v_mov_b32_e32 v62, v56
	v_lshlrev_b64_e32 v[59:60], 4, v[55:56]
	v_add_nc_u32_e32 v55, 0x2d0, v55
	s_wait_alu 0xfffe
	s_mov_b32 s10, s4
	v_lshlrev_b64_e32 v[67:68], 4, v[61:62]
	s_delay_alu instid0(VALU_DEP_3) | instskip(SKIP_3) | instid1(VALU_DEP_4)
	v_add_co_u32 v63, s1, s8, v59
	v_lshlrev_b64_e32 v[69:70], 4, v[55:56]
	s_wait_alu 0xf1ff
	v_add_co_ci_u32_e64 v64, s1, s9, v60, s1
	v_add_co_u32 v71, s1, s8, v67
	s_wait_alu 0xf1ff
	v_add_co_ci_u32_e64 v72, s1, s9, v68, s1
	s_clause 0x1
	global_load_b128 v[59:62], v[63:64], off offset:9456
	global_load_b128 v[63:66], v[63:64], off offset:9440
	v_add_co_u32 v79, s1, s8, v69
	s_wait_alu 0xf1ff
	v_add_co_ci_u32_e64 v80, s1, s9, v70, s1
	s_clause 0x3
	global_load_b128 v[67:70], v[71:72], off offset:9440
	global_load_b128 v[71:74], v[71:72], off offset:9456
	;; [unrolled: 1-line block ×4, first 2 shown]
	global_wb scope:SCOPE_SE
	s_wait_loadcnt_dscnt 0x0
	s_barrier_signal -1
	s_barrier_wait -1
	global_inv scope:SCOPE_SE
	v_mul_f64_e32 v[85:86], v[46:47], v[61:62]
	v_mul_f64_e32 v[83:84], v[38:39], v[65:66]
	;; [unrolled: 1-line block ×12, first 2 shown]
	v_fma_f64 v[44:45], v[44:45], v[59:60], v[85:86]
	v_fma_f64 v[36:37], v[36:37], v[63:64], v[83:84]
	v_fma_f64 v[38:39], v[38:39], v[63:64], -v[65:66]
	v_fma_f64 v[46:47], v[46:47], v[59:60], -v[61:62]
	v_fma_f64 v[24:25], v[24:25], v[67:68], v[87:88]
	v_fma_f64 v[40:41], v[40:41], v[71:72], v[89:90]
	v_fma_f64 v[26:27], v[26:27], v[67:68], -v[69:70]
	v_fma_f64 v[42:43], v[42:43], v[71:72], -v[73:74]
	;; [unrolled: 4-line block ×3, first 2 shown]
	v_add_f64_e32 v[59:60], v[36:37], v[44:45]
	v_add_f64_e32 v[71:72], v[20:21], v[36:37]
	;; [unrolled: 1-line block ×3, first 2 shown]
	v_add_f64_e64 v[73:74], v[38:39], -v[46:47]
	v_add_f64_e32 v[63:64], v[24:25], v[40:41]
	v_add_f64_e32 v[38:39], v[22:23], v[38:39]
	;; [unrolled: 1-line block ×3, first 2 shown]
	v_add_f64_e64 v[36:37], v[36:37], -v[44:45]
	v_add_f64_e32 v[67:68], v[28:29], v[32:33]
	v_add_f64_e32 v[75:76], v[12:13], v[24:25]
	;; [unrolled: 1-line block ×6, first 2 shown]
	v_add_f64_e64 v[83:84], v[26:27], -v[42:43]
	v_add_f64_e64 v[85:86], v[24:25], -v[40:41]
	;; [unrolled: 1-line block ×4, first 2 shown]
	v_fma_f64 v[59:60], v[59:60], -0.5, v[20:21]
	v_fma_f64 v[61:62], v[61:62], -0.5, v[22:23]
	;; [unrolled: 1-line block ×3, first 2 shown]
	v_add_f64_e32 v[12:13], v[71:72], v[44:45]
	v_fma_f64 v[65:66], v[65:66], -0.5, v[14:15]
	v_add_f64_e32 v[14:15], v[38:39], v[46:47]
	v_fma_f64 v[67:68], v[67:68], -0.5, v[16:17]
	;; [unrolled: 2-line block ×3, first 2 shown]
	v_add_f64_e32 v[18:19], v[77:78], v[42:43]
	v_add_f64_e32 v[20:21], v[79:80], v[32:33]
	v_add_f64_e32 v[22:23], v[81:82], v[34:35]
	v_fma_f64 v[24:25], v[73:74], s[4:5], v[59:60]
	s_wait_alu 0xfffe
	v_fma_f64 v[28:29], v[73:74], s[10:11], v[59:60]
	v_fma_f64 v[26:27], v[36:37], s[10:11], v[61:62]
	;; [unrolled: 1-line block ×11, first 2 shown]
	ds_store_b128 v57, v[12:15]
	ds_store_b128 v57, v[24:27] offset:9600
	ds_store_b128 v57, v[28:31] offset:19200
	ds_store_b128 v58, v[16:19]
	ds_store_b128 v58, v[32:35] offset:9600
	ds_store_b128 v58, v[36:39] offset:19200
	;; [unrolled: 1-line block ×5, first 2 shown]
	s_and_saveexec_b32 s1, s0
	s_cbranch_execz .LBB0_21
; %bb.20:
	v_mov_b32_e32 v12, 0x21c
	s_delay_alu instid0(VALU_DEP_1) | instskip(NEXT) | instid1(VALU_DEP_1)
	v_cndmask_b32_e64 v12, 0xffffffc4, v12, s0
	v_add_lshl_u32 v55, v50, v12, 1
	s_delay_alu instid0(VALU_DEP_1) | instskip(NEXT) | instid1(VALU_DEP_1)
	v_lshlrev_b64_e32 v[12:13], 4, v[55:56]
	v_add_co_u32 v16, s0, s8, v12
	s_wait_alu 0xf1ff
	s_delay_alu instid0(VALU_DEP_2)
	v_add_co_ci_u32_e64 v17, s0, s9, v13, s0
	s_clause 0x1
	global_load_b128 v[12:15], v[16:17], off offset:9440
	global_load_b128 v[16:19], v[16:17], off offset:9456
	s_wait_loadcnt 0x1
	v_mul_f64_e32 v[20:21], v[0:1], v[14:15]
	s_wait_loadcnt 0x0
	v_mul_f64_e32 v[22:23], v[4:5], v[18:19]
	v_mul_f64_e32 v[14:15], v[2:3], v[14:15]
	;; [unrolled: 1-line block ×3, first 2 shown]
	s_delay_alu instid0(VALU_DEP_4) | instskip(NEXT) | instid1(VALU_DEP_4)
	v_fma_f64 v[2:3], v[2:3], v[12:13], -v[20:21]
	v_fma_f64 v[6:7], v[6:7], v[16:17], -v[22:23]
	s_delay_alu instid0(VALU_DEP_4) | instskip(NEXT) | instid1(VALU_DEP_4)
	v_fma_f64 v[0:1], v[0:1], v[12:13], v[14:15]
	v_fma_f64 v[4:5], v[4:5], v[16:17], v[18:19]
	s_delay_alu instid0(VALU_DEP_4) | instskip(NEXT) | instid1(VALU_DEP_4)
	v_add_f64_e32 v[18:19], v[10:11], v[2:3]
	v_add_f64_e32 v[12:13], v[2:3], v[6:7]
	s_delay_alu instid0(VALU_DEP_3) | instskip(SKIP_2) | instid1(VALU_DEP_4)
	v_add_f64_e32 v[14:15], v[0:1], v[4:5]
	v_add_f64_e64 v[16:17], v[0:1], -v[4:5]
	v_add_f64_e32 v[0:1], v[8:9], v[0:1]
	v_fma_f64 v[10:11], v[12:13], -0.5, v[10:11]
	v_add_f64_e64 v[12:13], v[2:3], -v[6:7]
	v_fma_f64 v[14:15], v[14:15], -0.5, v[8:9]
	v_add_f64_e32 v[2:3], v[18:19], v[6:7]
	v_add_f64_e32 v[0:1], v[0:1], v[4:5]
	v_fma_f64 v[6:7], v[16:17], s[4:5], v[10:11]
	v_fma_f64 v[10:11], v[16:17], s[10:11], v[10:11]
	;; [unrolled: 1-line block ×4, first 2 shown]
	ds_store_b128 v57, v[0:3] offset:8640
	ds_store_b128 v57, v[8:11] offset:18240
	;; [unrolled: 1-line block ×3, first 2 shown]
.LBB0_21:
	s_wait_alu 0xfffe
	s_or_b32 exec_lo, exec_lo, s1
	global_wb scope:SCOPE_SE
	s_wait_dscnt 0x0
	s_barrier_signal -1
	s_barrier_wait -1
	global_inv scope:SCOPE_SE
	ds_load_b128 v[4:7], v57
	v_lshlrev_b32_e32 v0, 4, v50
	s_mov_b32 s1, exec_lo
                                        ; implicit-def: $vgpr8_vgpr9
                                        ; implicit-def: $vgpr10_vgpr11
                                        ; implicit-def: $vgpr12_vgpr13
	s_delay_alu instid0(VALU_DEP_1)
	v_sub_nc_u32_e32 v14, 0, v0
                                        ; implicit-def: $vgpr0_vgpr1
	v_cmpx_ne_u32_e32 0, v50
	s_wait_alu 0xfffe
	s_xor_b32 s1, exec_lo, s1
	s_cbranch_execz .LBB0_23
; %bb.22:
	v_mov_b32_e32 v51, 0
	s_delay_alu instid0(VALU_DEP_1) | instskip(NEXT) | instid1(VALU_DEP_1)
	v_lshlrev_b64_e32 v[0:1], 4, v[50:51]
	v_add_co_u32 v0, s0, s8, v0
	s_wait_alu 0xf1ff
	s_delay_alu instid0(VALU_DEP_2)
	v_add_co_ci_u32_e64 v1, s0, s9, v1, s0
	global_load_b128 v[15:18], v[0:1], off offset:28640
	ds_load_b128 v[0:3], v14 offset:28800
	s_wait_dscnt 0x0
	v_add_f64_e64 v[8:9], v[4:5], -v[0:1]
	v_add_f64_e32 v[10:11], v[6:7], v[2:3]
	v_add_f64_e64 v[2:3], v[6:7], -v[2:3]
	v_add_f64_e32 v[0:1], v[4:5], v[0:1]
	s_delay_alu instid0(VALU_DEP_4) | instskip(NEXT) | instid1(VALU_DEP_4)
	v_mul_f64_e32 v[6:7], 0.5, v[8:9]
	v_mul_f64_e32 v[4:5], 0.5, v[10:11]
	s_delay_alu instid0(VALU_DEP_4) | instskip(SKIP_1) | instid1(VALU_DEP_3)
	v_mul_f64_e32 v[2:3], 0.5, v[2:3]
	s_wait_loadcnt 0x0
	v_mul_f64_e32 v[8:9], v[6:7], v[17:18]
	s_delay_alu instid0(VALU_DEP_2) | instskip(SKIP_1) | instid1(VALU_DEP_3)
	v_fma_f64 v[10:11], v[4:5], v[17:18], v[2:3]
	v_fma_f64 v[2:3], v[4:5], v[17:18], -v[2:3]
	v_fma_f64 v[12:13], v[0:1], 0.5, v[8:9]
	v_fma_f64 v[0:1], v[0:1], 0.5, -v[8:9]
	s_delay_alu instid0(VALU_DEP_4) | instskip(NEXT) | instid1(VALU_DEP_4)
	v_fma_f64 v[10:11], -v[15:16], v[6:7], v[10:11]
	v_fma_f64 v[2:3], -v[15:16], v[6:7], v[2:3]
	s_delay_alu instid0(VALU_DEP_4) | instskip(NEXT) | instid1(VALU_DEP_4)
	v_fma_f64 v[8:9], v[4:5], v[15:16], v[12:13]
	v_fma_f64 v[0:1], -v[4:5], v[15:16], v[0:1]
	v_dual_mov_b32 v12, v50 :: v_dual_mov_b32 v13, v51
                                        ; implicit-def: $vgpr4_vgpr5
.LBB0_23:
	s_wait_alu 0xfffe
	s_and_not1_saveexec_b32 s0, s1
	s_cbranch_execz .LBB0_25
; %bb.24:
	s_wait_dscnt 0x0
	v_add_f64_e32 v[8:9], v[4:5], v[6:7]
	v_add_f64_e64 v[0:1], v[4:5], -v[6:7]
	v_mov_b32_e32 v6, 0
	v_mov_b32_e32 v10, 0
	v_dual_mov_b32 v11, 0 :: v_dual_mov_b32 v12, 0
	s_delay_alu instid0(VALU_DEP_2)
	v_mov_b32_e32 v2, v10
	ds_load_b64 v[4:5], v6 offset:14408
	v_mov_b32_e32 v13, 0
	v_mov_b32_e32 v3, v11
	s_wait_dscnt 0x0
	v_xor_b32_e32 v5, 0x80000000, v5
	ds_store_b64 v6, v[4:5] offset:14408
.LBB0_25:
	s_wait_alu 0xfffe
	s_or_b32 exec_lo, exec_lo, s0
	v_mov_b32_e32 v55, 0
	v_lshlrev_b64_e32 v[12:13], 4, v[12:13]
	s_wait_dscnt 0x0
	s_delay_alu instid0(VALU_DEP_2) | instskip(NEXT) | instid1(VALU_DEP_1)
	v_lshlrev_b64_e32 v[4:5], 4, v[54:55]
	v_add_co_u32 v4, s0, s8, v4
	s_wait_alu 0xf1ff
	s_delay_alu instid0(VALU_DEP_2)
	v_add_co_ci_u32_e64 v5, s0, s9, v5, s0
	s_add_nc_u64 s[0:1], s[8:9], 0x6fe0
	s_wait_alu 0xfffe
	v_add_co_u32 v12, s0, s0, v12
	global_load_b128 v[4:7], v[4:5], off offset:28640
	s_wait_alu 0xf1ff
	v_add_co_ci_u32_e64 v13, s0, s1, v13, s0
	global_load_b128 v[15:18], v[12:13], off offset:5760
	ds_store_2addr_b64 v57, v[8:9], v[10:11] offset1:1
	ds_store_b128 v14, v[0:3] offset:28800
	ds_load_b128 v[0:3], v58
	ds_load_b128 v[8:11], v14 offset:25920
	s_wait_dscnt 0x0
	v_add_f64_e64 v[19:20], v[0:1], -v[8:9]
	v_add_f64_e32 v[21:22], v[2:3], v[10:11]
	v_add_f64_e64 v[2:3], v[2:3], -v[10:11]
	v_add_f64_e32 v[0:1], v[0:1], v[8:9]
	s_delay_alu instid0(VALU_DEP_4) | instskip(NEXT) | instid1(VALU_DEP_4)
	v_mul_f64_e32 v[10:11], 0.5, v[19:20]
	v_mul_f64_e32 v[19:20], 0.5, v[21:22]
	s_delay_alu instid0(VALU_DEP_4) | instskip(SKIP_1) | instid1(VALU_DEP_3)
	v_mul_f64_e32 v[2:3], 0.5, v[2:3]
	s_wait_loadcnt 0x1
	v_mul_f64_e32 v[8:9], v[10:11], v[6:7]
	s_delay_alu instid0(VALU_DEP_2) | instskip(SKIP_1) | instid1(VALU_DEP_3)
	v_fma_f64 v[21:22], v[19:20], v[6:7], v[2:3]
	v_fma_f64 v[2:3], v[19:20], v[6:7], -v[2:3]
	v_fma_f64 v[6:7], v[0:1], 0.5, v[8:9]
	v_fma_f64 v[0:1], v[0:1], 0.5, -v[8:9]
	s_delay_alu instid0(VALU_DEP_4) | instskip(NEXT) | instid1(VALU_DEP_4)
	v_fma_f64 v[8:9], -v[4:5], v[10:11], v[21:22]
	v_fma_f64 v[2:3], -v[4:5], v[10:11], v[2:3]
	s_delay_alu instid0(VALU_DEP_4) | instskip(NEXT) | instid1(VALU_DEP_4)
	v_fma_f64 v[10:11], v[19:20], v[4:5], v[6:7]
	v_fma_f64 v[0:1], -v[19:20], v[4:5], v[0:1]
	global_load_b128 v[4:7], v[12:13], off offset:8640
	ds_store_2addr_b64 v58, v[10:11], v[8:9] offset1:1
	ds_store_b128 v14, v[0:3] offset:25920
	ds_load_b128 v[0:3], v57 offset:5760
	ds_load_b128 v[8:11], v14 offset:23040
	s_wait_dscnt 0x0
	v_add_f64_e64 v[19:20], v[0:1], -v[8:9]
	v_add_f64_e32 v[21:22], v[2:3], v[10:11]
	v_add_f64_e64 v[2:3], v[2:3], -v[10:11]
	v_add_f64_e32 v[0:1], v[0:1], v[8:9]
	s_delay_alu instid0(VALU_DEP_4) | instskip(NEXT) | instid1(VALU_DEP_4)
	v_mul_f64_e32 v[10:11], 0.5, v[19:20]
	v_mul_f64_e32 v[19:20], 0.5, v[21:22]
	s_delay_alu instid0(VALU_DEP_4) | instskip(SKIP_1) | instid1(VALU_DEP_3)
	v_mul_f64_e32 v[2:3], 0.5, v[2:3]
	s_wait_loadcnt 0x1
	v_mul_f64_e32 v[8:9], v[10:11], v[17:18]
	s_delay_alu instid0(VALU_DEP_2) | instskip(SKIP_1) | instid1(VALU_DEP_3)
	v_fma_f64 v[21:22], v[19:20], v[17:18], v[2:3]
	v_fma_f64 v[2:3], v[19:20], v[17:18], -v[2:3]
	v_fma_f64 v[17:18], v[0:1], 0.5, v[8:9]
	v_fma_f64 v[0:1], v[0:1], 0.5, -v[8:9]
	s_delay_alu instid0(VALU_DEP_4) | instskip(NEXT) | instid1(VALU_DEP_4)
	v_fma_f64 v[21:22], -v[15:16], v[10:11], v[21:22]
	v_fma_f64 v[2:3], -v[15:16], v[10:11], v[2:3]
	global_load_b128 v[8:11], v[12:13], off offset:11520
	v_add_nc_u32_e32 v12, 0x1000, v57
	v_fma_f64 v[17:18], v[19:20], v[15:16], v[17:18]
	v_fma_f64 v[0:1], -v[19:20], v[15:16], v[0:1]
	ds_store_2addr_b64 v12, v[17:18], v[21:22] offset0:208 offset1:209
	ds_store_b128 v14, v[0:3] offset:23040
	ds_load_b128 v[0:3], v57 offset:8640
	ds_load_b128 v[15:18], v14 offset:20160
	s_wait_dscnt 0x0
	v_add_f64_e64 v[12:13], v[0:1], -v[15:16]
	v_add_f64_e32 v[19:20], v[2:3], v[17:18]
	v_add_f64_e64 v[2:3], v[2:3], -v[17:18]
	v_add_f64_e32 v[0:1], v[0:1], v[15:16]
	s_delay_alu instid0(VALU_DEP_4) | instskip(NEXT) | instid1(VALU_DEP_4)
	v_mul_f64_e32 v[12:13], 0.5, v[12:13]
	v_mul_f64_e32 v[17:18], 0.5, v[19:20]
	s_delay_alu instid0(VALU_DEP_4) | instskip(SKIP_1) | instid1(VALU_DEP_3)
	v_mul_f64_e32 v[2:3], 0.5, v[2:3]
	s_wait_loadcnt 0x1
	v_mul_f64_e32 v[15:16], v[12:13], v[6:7]
	s_delay_alu instid0(VALU_DEP_2) | instskip(SKIP_1) | instid1(VALU_DEP_3)
	v_fma_f64 v[19:20], v[17:18], v[6:7], v[2:3]
	v_fma_f64 v[2:3], v[17:18], v[6:7], -v[2:3]
	v_fma_f64 v[6:7], v[0:1], 0.5, v[15:16]
	v_fma_f64 v[0:1], v[0:1], 0.5, -v[15:16]
	s_delay_alu instid0(VALU_DEP_4) | instskip(NEXT) | instid1(VALU_DEP_4)
	v_fma_f64 v[15:16], -v[4:5], v[12:13], v[19:20]
	v_fma_f64 v[2:3], -v[4:5], v[12:13], v[2:3]
	s_delay_alu instid0(VALU_DEP_4) | instskip(NEXT) | instid1(VALU_DEP_4)
	v_fma_f64 v[6:7], v[17:18], v[4:5], v[6:7]
	v_fma_f64 v[0:1], -v[17:18], v[4:5], v[0:1]
	v_add_nc_u32_e32 v4, 0x2000, v57
	ds_store_2addr_b64 v4, v[6:7], v[15:16] offset0:56 offset1:57
	ds_store_b128 v14, v[0:3] offset:20160
	ds_load_b128 v[0:3], v57 offset:11520
	ds_load_b128 v[4:7], v14 offset:17280
	s_wait_dscnt 0x0
	v_add_f64_e64 v[12:13], v[0:1], -v[4:5]
	v_add_f64_e32 v[15:16], v[2:3], v[6:7]
	v_add_f64_e64 v[2:3], v[2:3], -v[6:7]
	v_add_f64_e32 v[0:1], v[0:1], v[4:5]
	s_delay_alu instid0(VALU_DEP_4) | instskip(NEXT) | instid1(VALU_DEP_4)
	v_mul_f64_e32 v[6:7], 0.5, v[12:13]
	v_mul_f64_e32 v[12:13], 0.5, v[15:16]
	s_delay_alu instid0(VALU_DEP_4) | instskip(SKIP_1) | instid1(VALU_DEP_3)
	v_mul_f64_e32 v[2:3], 0.5, v[2:3]
	s_wait_loadcnt 0x0
	v_mul_f64_e32 v[4:5], v[6:7], v[10:11]
	s_delay_alu instid0(VALU_DEP_2) | instskip(SKIP_1) | instid1(VALU_DEP_3)
	v_fma_f64 v[15:16], v[12:13], v[10:11], v[2:3]
	v_fma_f64 v[2:3], v[12:13], v[10:11], -v[2:3]
	v_fma_f64 v[10:11], v[0:1], 0.5, v[4:5]
	v_fma_f64 v[0:1], v[0:1], 0.5, -v[4:5]
	s_delay_alu instid0(VALU_DEP_4) | instskip(NEXT) | instid1(VALU_DEP_4)
	v_fma_f64 v[4:5], -v[8:9], v[6:7], v[15:16]
	v_fma_f64 v[2:3], -v[8:9], v[6:7], v[2:3]
	s_delay_alu instid0(VALU_DEP_4) | instskip(NEXT) | instid1(VALU_DEP_4)
	v_fma_f64 v[6:7], v[12:13], v[8:9], v[10:11]
	v_fma_f64 v[0:1], -v[12:13], v[8:9], v[0:1]
	v_add_nc_u32_e32 v8, 0x2800, v57
	ds_store_2addr_b64 v8, v[6:7], v[4:5] offset0:160 offset1:161
	ds_store_b128 v14, v[0:3] offset:17280
	global_wb scope:SCOPE_SE
	s_wait_dscnt 0x0
	s_barrier_signal -1
	s_barrier_wait -1
	global_inv scope:SCOPE_SE
	s_and_saveexec_b32 s0, vcc_lo
	s_cbranch_execz .LBB0_28
; %bb.26:
	v_mul_lo_u32 v2, s3, v52
	v_mul_lo_u32 v3, s2, v53
	v_mad_co_u64_u32 v[0:1], null, s2, v52, 0
	v_lshl_add_u32 v28, v50, 4, 0
	v_dual_mov_b32 v51, v55 :: v_dual_add_nc_u32 v54, 0xb4, v50
	v_lshlrev_b64_e32 v[10:11], 4, v[48:49]
	s_delay_alu instid0(VALU_DEP_4)
	v_add3_u32 v1, v1, v3, v2
	ds_load_b128 v[2:5], v28
	ds_load_b128 v[6:9], v28 offset:2880
	v_lshlrev_b64_e32 v[12:13], 4, v[50:51]
	v_lshlrev_b64_e32 v[14:15], 4, v[54:55]
	v_add_nc_u32_e32 v54, 0x168, v50
	v_lshlrev_b64_e32 v[0:1], 4, v[0:1]
	s_delay_alu instid0(VALU_DEP_1) | instskip(SKIP_1) | instid1(VALU_DEP_2)
	v_add_co_u32 v0, vcc_lo, s6, v0
	s_wait_alu 0xfffd
	v_add_co_ci_u32_e32 v1, vcc_lo, s7, v1, vcc_lo
	s_delay_alu instid0(VALU_DEP_2) | instskip(SKIP_1) | instid1(VALU_DEP_2)
	v_add_co_u32 v0, vcc_lo, v0, v10
	s_wait_alu 0xfffd
	v_add_co_ci_u32_e32 v1, vcc_lo, v1, v11, vcc_lo
	s_delay_alu instid0(VALU_DEP_2) | instskip(SKIP_1) | instid1(VALU_DEP_2)
	v_add_co_u32 v10, vcc_lo, v0, v12
	s_wait_alu 0xfffd
	v_add_co_ci_u32_e32 v11, vcc_lo, v1, v13, vcc_lo
	v_add_co_u32 v12, vcc_lo, v0, v14
	s_wait_alu 0xfffd
	v_add_co_ci_u32_e32 v13, vcc_lo, v1, v15, vcc_lo
	v_lshlrev_b64_e32 v[14:15], 4, v[54:55]
	v_add_nc_u32_e32 v54, 0x21c, v50
	s_wait_dscnt 0x1
	global_store_b128 v[10:11], v[2:5], off
	s_wait_dscnt 0x0
	global_store_b128 v[12:13], v[6:9], off
	ds_load_b128 v[2:5], v28 offset:5760
	ds_load_b128 v[6:9], v28 offset:8640
	v_add_co_u32 v20, vcc_lo, v0, v14
	v_lshlrev_b64_e32 v[18:19], 4, v[54:55]
	v_add_nc_u32_e32 v54, 0x2d0, v50
	s_wait_alu 0xfffd
	v_add_co_ci_u32_e32 v21, vcc_lo, v1, v15, vcc_lo
	ds_load_b128 v[10:13], v28 offset:11520
	ds_load_b128 v[14:17], v28 offset:14400
	v_lshlrev_b64_e32 v[22:23], 4, v[54:55]
	v_add_nc_u32_e32 v54, 0x384, v50
	v_add_co_u32 v18, vcc_lo, v0, v18
	s_wait_alu 0xfffd
	v_add_co_ci_u32_e32 v19, vcc_lo, v1, v19, vcc_lo
	s_delay_alu instid0(VALU_DEP_3) | instskip(SKIP_4) | instid1(VALU_DEP_3)
	v_lshlrev_b64_e32 v[24:25], 4, v[54:55]
	v_add_nc_u32_e32 v54, 0x438, v50
	v_add_co_u32 v22, vcc_lo, v0, v22
	s_wait_alu 0xfffd
	v_add_co_ci_u32_e32 v23, vcc_lo, v1, v23, vcc_lo
	v_lshlrev_b64_e32 v[26:27], 4, v[54:55]
	v_add_nc_u32_e32 v54, 0x4ec, v50
	v_add_co_u32 v24, vcc_lo, v0, v24
	s_wait_alu 0xfffd
	v_add_co_ci_u32_e32 v25, vcc_lo, v1, v25, vcc_lo
	s_wait_dscnt 0x3
	global_store_b128 v[20:21], v[2:5], off
	s_wait_dscnt 0x2
	global_store_b128 v[18:19], v[6:9], off
	;; [unrolled: 2-line block ×4, first 2 shown]
	v_lshlrev_b64_e32 v[20:21], 4, v[54:55]
	v_add_nc_u32_e32 v54, 0x5a0, v50
	ds_load_b128 v[2:5], v28 offset:17280
	ds_load_b128 v[6:9], v28 offset:20160
	;; [unrolled: 1-line block ×4, first 2 shown]
	v_add_co_u32 v18, vcc_lo, v0, v26
	s_wait_alu 0xfffd
	v_add_co_ci_u32_e32 v19, vcc_lo, v1, v27, vcc_lo
	v_lshlrev_b64_e32 v[22:23], 4, v[54:55]
	v_add_nc_u32_e32 v54, 0x654, v50
	v_add_co_u32 v20, vcc_lo, v0, v20
	s_wait_alu 0xfffd
	v_add_co_ci_u32_e32 v21, vcc_lo, v1, v21, vcc_lo
	s_delay_alu instid0(VALU_DEP_3) | instskip(SKIP_3) | instid1(VALU_DEP_3)
	v_lshlrev_b64_e32 v[24:25], 4, v[54:55]
	v_add_co_u32 v22, vcc_lo, v0, v22
	s_wait_alu 0xfffd
	v_add_co_ci_u32_e32 v23, vcc_lo, v1, v23, vcc_lo
	v_add_co_u32 v24, vcc_lo, v0, v24
	s_wait_alu 0xfffd
	v_add_co_ci_u32_e32 v25, vcc_lo, v1, v25, vcc_lo
	v_cmp_eq_u32_e32 vcc_lo, 0xb3, v50
	s_wait_dscnt 0x3
	global_store_b128 v[18:19], v[2:5], off
	s_wait_dscnt 0x2
	global_store_b128 v[20:21], v[6:9], off
	;; [unrolled: 2-line block ×4, first 2 shown]
	s_and_b32 exec_lo, exec_lo, vcc_lo
	s_cbranch_execz .LBB0_28
; %bb.27:
	v_mov_b32_e32 v2, 0
	ds_load_b128 v[2:5], v2 offset:28800
	s_wait_dscnt 0x0
	global_store_b128 v[0:1], v[2:5], off offset:28800
.LBB0_28:
	s_nop 0
	s_sendmsg sendmsg(MSG_DEALLOC_VGPRS)
	s_endpgm
	.section	.rodata,"a",@progbits
	.p2align	6, 0x0
	.amdhsa_kernel fft_rtc_back_len1800_factors_10_6_10_3_wgs_180_tpt_180_halfLds_dp_op_CI_CI_unitstride_sbrr_R2C_dirReg
		.amdhsa_group_segment_fixed_size 0
		.amdhsa_private_segment_fixed_size 0
		.amdhsa_kernarg_size 104
		.amdhsa_user_sgpr_count 2
		.amdhsa_user_sgpr_dispatch_ptr 0
		.amdhsa_user_sgpr_queue_ptr 0
		.amdhsa_user_sgpr_kernarg_segment_ptr 1
		.amdhsa_user_sgpr_dispatch_id 0
		.amdhsa_user_sgpr_private_segment_size 0
		.amdhsa_wavefront_size32 1
		.amdhsa_uses_dynamic_stack 0
		.amdhsa_enable_private_segment 0
		.amdhsa_system_sgpr_workgroup_id_x 1
		.amdhsa_system_sgpr_workgroup_id_y 0
		.amdhsa_system_sgpr_workgroup_id_z 0
		.amdhsa_system_sgpr_workgroup_info 0
		.amdhsa_system_vgpr_workitem_id 0
		.amdhsa_next_free_vgpr 115
		.amdhsa_next_free_sgpr 39
		.amdhsa_reserve_vcc 1
		.amdhsa_float_round_mode_32 0
		.amdhsa_float_round_mode_16_64 0
		.amdhsa_float_denorm_mode_32 3
		.amdhsa_float_denorm_mode_16_64 3
		.amdhsa_fp16_overflow 0
		.amdhsa_workgroup_processor_mode 1
		.amdhsa_memory_ordered 1
		.amdhsa_forward_progress 0
		.amdhsa_round_robin_scheduling 0
		.amdhsa_exception_fp_ieee_invalid_op 0
		.amdhsa_exception_fp_denorm_src 0
		.amdhsa_exception_fp_ieee_div_zero 0
		.amdhsa_exception_fp_ieee_overflow 0
		.amdhsa_exception_fp_ieee_underflow 0
		.amdhsa_exception_fp_ieee_inexact 0
		.amdhsa_exception_int_div_zero 0
	.end_amdhsa_kernel
	.text
.Lfunc_end0:
	.size	fft_rtc_back_len1800_factors_10_6_10_3_wgs_180_tpt_180_halfLds_dp_op_CI_CI_unitstride_sbrr_R2C_dirReg, .Lfunc_end0-fft_rtc_back_len1800_factors_10_6_10_3_wgs_180_tpt_180_halfLds_dp_op_CI_CI_unitstride_sbrr_R2C_dirReg
                                        ; -- End function
	.section	.AMDGPU.csdata,"",@progbits
; Kernel info:
; codeLenInByte = 9484
; NumSgprs: 41
; NumVgprs: 115
; ScratchSize: 0
; MemoryBound: 0
; FloatMode: 240
; IeeeMode: 1
; LDSByteSize: 0 bytes/workgroup (compile time only)
; SGPRBlocks: 5
; VGPRBlocks: 14
; NumSGPRsForWavesPerEU: 41
; NumVGPRsForWavesPerEU: 115
; Occupancy: 12
; WaveLimiterHint : 1
; COMPUTE_PGM_RSRC2:SCRATCH_EN: 0
; COMPUTE_PGM_RSRC2:USER_SGPR: 2
; COMPUTE_PGM_RSRC2:TRAP_HANDLER: 0
; COMPUTE_PGM_RSRC2:TGID_X_EN: 1
; COMPUTE_PGM_RSRC2:TGID_Y_EN: 0
; COMPUTE_PGM_RSRC2:TGID_Z_EN: 0
; COMPUTE_PGM_RSRC2:TIDIG_COMP_CNT: 0
	.text
	.p2alignl 7, 3214868480
	.fill 96, 4, 3214868480
	.type	__hip_cuid_36fb5bb21a6beb9b,@object ; @__hip_cuid_36fb5bb21a6beb9b
	.section	.bss,"aw",@nobits
	.globl	__hip_cuid_36fb5bb21a6beb9b
__hip_cuid_36fb5bb21a6beb9b:
	.byte	0                               ; 0x0
	.size	__hip_cuid_36fb5bb21a6beb9b, 1

	.ident	"AMD clang version 19.0.0git (https://github.com/RadeonOpenCompute/llvm-project roc-6.4.0 25133 c7fe45cf4b819c5991fe208aaa96edf142730f1d)"
	.section	".note.GNU-stack","",@progbits
	.addrsig
	.addrsig_sym __hip_cuid_36fb5bb21a6beb9b
	.amdgpu_metadata
---
amdhsa.kernels:
  - .args:
      - .actual_access:  read_only
        .address_space:  global
        .offset:         0
        .size:           8
        .value_kind:     global_buffer
      - .offset:         8
        .size:           8
        .value_kind:     by_value
      - .actual_access:  read_only
        .address_space:  global
        .offset:         16
        .size:           8
        .value_kind:     global_buffer
      - .actual_access:  read_only
        .address_space:  global
        .offset:         24
        .size:           8
        .value_kind:     global_buffer
      - .actual_access:  read_only
        .address_space:  global
        .offset:         32
        .size:           8
        .value_kind:     global_buffer
      - .offset:         40
        .size:           8
        .value_kind:     by_value
      - .actual_access:  read_only
        .address_space:  global
        .offset:         48
        .size:           8
        .value_kind:     global_buffer
      - .actual_access:  read_only
        .address_space:  global
        .offset:         56
        .size:           8
        .value_kind:     global_buffer
      - .offset:         64
        .size:           4
        .value_kind:     by_value
      - .actual_access:  read_only
        .address_space:  global
        .offset:         72
        .size:           8
        .value_kind:     global_buffer
      - .actual_access:  read_only
        .address_space:  global
        .offset:         80
        .size:           8
        .value_kind:     global_buffer
      - .actual_access:  read_only
        .address_space:  global
        .offset:         88
        .size:           8
        .value_kind:     global_buffer
      - .actual_access:  write_only
        .address_space:  global
        .offset:         96
        .size:           8
        .value_kind:     global_buffer
    .group_segment_fixed_size: 0
    .kernarg_segment_align: 8
    .kernarg_segment_size: 104
    .language:       OpenCL C
    .language_version:
      - 2
      - 0
    .max_flat_workgroup_size: 180
    .name:           fft_rtc_back_len1800_factors_10_6_10_3_wgs_180_tpt_180_halfLds_dp_op_CI_CI_unitstride_sbrr_R2C_dirReg
    .private_segment_fixed_size: 0
    .sgpr_count:     41
    .sgpr_spill_count: 0
    .symbol:         fft_rtc_back_len1800_factors_10_6_10_3_wgs_180_tpt_180_halfLds_dp_op_CI_CI_unitstride_sbrr_R2C_dirReg.kd
    .uniform_work_group_size: 1
    .uses_dynamic_stack: false
    .vgpr_count:     115
    .vgpr_spill_count: 0
    .wavefront_size: 32
    .workgroup_processor_mode: 1
amdhsa.target:   amdgcn-amd-amdhsa--gfx1201
amdhsa.version:
  - 1
  - 2
...

	.end_amdgpu_metadata
